;; amdgpu-corpus repo=zjin-lcf/HeCBench kind=compiled arch=gfx906 opt=O3
	.amdgcn_target "amdgcn-amd-amdhsa--gfx906"
	.amdhsa_code_object_version 6
	.text
	.protected	_Z2mdPK15HIP_vector_typeIdLj4EEPS0_PKiiiddd ; -- Begin function _Z2mdPK15HIP_vector_typeIdLj4EEPS0_PKiiiddd
	.globl	_Z2mdPK15HIP_vector_typeIdLj4EEPS0_PKiiiddd
	.p2align	8
	.type	_Z2mdPK15HIP_vector_typeIdLj4EEPS0_PKiiiddd,@function
_Z2mdPK15HIP_vector_typeIdLj4EEPS0_PKiiiddd: ; @_Z2mdPK15HIP_vector_typeIdLj4EEPS0_PKiiiddd
; %bb.0:
	s_load_dword s0, s[4:5], 0x44
	s_load_dwordx2 s[12:13], s[4:5], 0x18
	s_waitcnt lgkmcnt(0)
	s_and_b32 s0, s0, 0xffff
	s_mul_i32 s6, s6, s0
	v_add_u32_e32 v12, s6, v0
	v_cmp_gt_u32_e32 vcc, s12, v12
	s_and_saveexec_b64 s[0:1], vcc
	s_cbranch_execz .LBB0_8
; %bb.1:
	s_load_dwordx2 s[2:3], s[4:5], 0x8
	v_mov_b32_e32 v13, 0
	v_lshlrev_b64 v[10:11], 5, v[12:13]
	s_cmp_lt_i32 s13, 1
	s_cbranch_scc1 .LBB0_6
; %bb.2:
	s_load_dwordx2 s[6:7], s[4:5], 0x0
	s_load_dwordx2 s[14:15], s[4:5], 0x10
	v_mov_b32_e32 v4, 0
	v_mov_b32_e32 v2, 0
	;; [unrolled: 1-line block ×3, first 2 shown]
	s_waitcnt lgkmcnt(0)
	v_mov_b32_e32 v24, s7
	v_add_co_u32_e32 v0, vcc, s6, v10
	v_addc_co_u32_e32 v1, vcc, v24, v11, vcc
	global_load_dwordx2 v[14:15], v[0:1], off offset:16
	global_load_dwordx4 v[6:9], v[0:1], off
	s_load_dwordx4 s[8:11], s[4:5], 0x20
	s_load_dwordx2 s[16:17], s[4:5], 0x30
	v_mov_b32_e32 v0, 0
	v_mov_b32_e32 v1, 0
	;; [unrolled: 1-line block ×4, first 2 shown]
	s_branch .LBB0_4
.LBB0_3:                                ;   in Loop: Header=BB0_4 Depth=1
	s_or_b64 exec, exec, s[0:1]
	s_add_i32 s13, s13, -1
	s_cmp_lg_u32 s13, 0
	v_add_u32_e32 v12, s12, v12
	s_cbranch_scc0 .LBB0_7
.LBB0_4:                                ; =>This Inner Loop Header: Depth=1
	v_lshlrev_b64 v[16:17], 2, v[12:13]
	v_add_co_u32_e32 v16, vcc, s14, v16
	v_addc_co_u32_e32 v17, vcc, v25, v17, vcc
	global_load_dword v16, v[16:17], off
	s_waitcnt vmcnt(0)
	v_ashrrev_i32_e32 v17, 31, v16
	v_lshlrev_b64 v[16:17], 5, v[16:17]
	v_add_co_u32_e32 v16, vcc, s6, v16
	v_addc_co_u32_e32 v17, vcc, v24, v17, vcc
	global_load_dwordx4 v[18:21], v[16:17], off
	global_load_dwordx2 v[22:23], v[16:17], off offset:16
	s_waitcnt vmcnt(1)
	v_add_f64 v[16:17], v[8:9], -v[20:21]
	v_add_f64 v[18:19], v[6:7], -v[18:19]
	s_waitcnt vmcnt(0)
	v_add_f64 v[20:21], v[14:15], -v[22:23]
	v_mul_f64 v[26:27], v[16:17], v[16:17]
	v_fma_f64 v[22:23], v[18:19], v[18:19], v[26:27]
	v_fma_f64 v[22:23], v[20:21], v[20:21], v[22:23]
	v_cmp_lt_f64_e32 vcc, 0, v[22:23]
	s_waitcnt lgkmcnt(0)
	v_cmp_gt_f64_e64 s[0:1], s[16:17], v[22:23]
	s_and_b64 s[4:5], vcc, s[0:1]
	s_and_saveexec_b64 s[0:1], s[4:5]
	s_cbranch_execz .LBB0_3
; %bb.5:                                ;   in Loop: Header=BB0_4 Depth=1
	v_div_scale_f64 v[26:27], s[4:5], v[22:23], v[22:23], 1.0
	v_rcp_f64_e32 v[28:29], v[26:27]
	v_fma_f64 v[30:31], -v[26:27], v[28:29], 1.0
	v_fma_f64 v[28:29], v[28:29], v[30:31], v[28:29]
	v_div_scale_f64 v[30:31], vcc, 1.0, v[22:23], 1.0
	v_fma_f64 v[32:33], -v[26:27], v[28:29], 1.0
	v_fma_f64 v[28:29], v[28:29], v[32:33], v[28:29]
	v_mul_f64 v[32:33], v[30:31], v[28:29]
	v_fma_f64 v[26:27], -v[26:27], v[32:33], v[30:31]
	v_div_fmas_f64 v[26:27], v[26:27], v[28:29], v[32:33]
	v_mov_b32_e32 v29, s11
	v_mov_b32_e32 v28, s10
	v_div_fixup_f64 v[22:23], v[26:27], v[22:23], 1.0
	v_mul_f64 v[26:27], v[22:23], v[22:23]
	v_mul_f64 v[26:27], v[22:23], v[26:27]
	;; [unrolled: 1-line block ×3, first 2 shown]
	v_fma_f64 v[26:27], s[8:9], v[26:27], -v[28:29]
	v_mul_f64 v[22:23], v[22:23], v[26:27]
	v_fma_f64 v[2:3], v[18:19], v[22:23], v[2:3]
	v_fma_f64 v[4:5], v[16:17], v[22:23], v[4:5]
	;; [unrolled: 1-line block ×3, first 2 shown]
	s_branch .LBB0_3
.LBB0_6:
	v_mov_b32_e32 v0, 0
	v_mov_b32_e32 v4, 0
	;; [unrolled: 1-line block ×6, first 2 shown]
.LBB0_7:
	s_waitcnt lgkmcnt(0)
	v_mov_b32_e32 v7, s3
	v_add_co_u32_e32 v6, vcc, s2, v10
	v_addc_co_u32_e32 v7, vcc, v7, v11, vcc
	global_store_dwordx4 v[6:7], v[2:5], off
	s_nop 0
	v_mov_b32_e32 v2, 0
	v_mov_b32_e32 v3, v2
	global_store_dwordx4 v[6:7], v[0:3], off offset:16
.LBB0_8:
	s_endpgm
	.section	.rodata,"a",@progbits
	.p2align	6, 0x0
	.amdhsa_kernel _Z2mdPK15HIP_vector_typeIdLj4EEPS0_PKiiiddd
		.amdhsa_group_segment_fixed_size 0
		.amdhsa_private_segment_fixed_size 0
		.amdhsa_kernarg_size 312
		.amdhsa_user_sgpr_count 6
		.amdhsa_user_sgpr_private_segment_buffer 1
		.amdhsa_user_sgpr_dispatch_ptr 0
		.amdhsa_user_sgpr_queue_ptr 0
		.amdhsa_user_sgpr_kernarg_segment_ptr 1
		.amdhsa_user_sgpr_dispatch_id 0
		.amdhsa_user_sgpr_flat_scratch_init 0
		.amdhsa_user_sgpr_private_segment_size 0
		.amdhsa_uses_dynamic_stack 0
		.amdhsa_system_sgpr_private_segment_wavefront_offset 0
		.amdhsa_system_sgpr_workgroup_id_x 1
		.amdhsa_system_sgpr_workgroup_id_y 0
		.amdhsa_system_sgpr_workgroup_id_z 0
		.amdhsa_system_sgpr_workgroup_info 0
		.amdhsa_system_vgpr_workitem_id 0
		.amdhsa_next_free_vgpr 34
		.amdhsa_next_free_sgpr 18
		.amdhsa_reserve_vcc 1
		.amdhsa_reserve_flat_scratch 0
		.amdhsa_float_round_mode_32 0
		.amdhsa_float_round_mode_16_64 0
		.amdhsa_float_denorm_mode_32 3
		.amdhsa_float_denorm_mode_16_64 3
		.amdhsa_dx10_clamp 1
		.amdhsa_ieee_mode 1
		.amdhsa_fp16_overflow 0
		.amdhsa_exception_fp_ieee_invalid_op 0
		.amdhsa_exception_fp_denorm_src 0
		.amdhsa_exception_fp_ieee_div_zero 0
		.amdhsa_exception_fp_ieee_overflow 0
		.amdhsa_exception_fp_ieee_underflow 0
		.amdhsa_exception_fp_ieee_inexact 0
		.amdhsa_exception_int_div_zero 0
	.end_amdhsa_kernel
	.text
.Lfunc_end0:
	.size	_Z2mdPK15HIP_vector_typeIdLj4EEPS0_PKiiiddd, .Lfunc_end0-_Z2mdPK15HIP_vector_typeIdLj4EEPS0_PKiiiddd
                                        ; -- End function
	.set _Z2mdPK15HIP_vector_typeIdLj4EEPS0_PKiiiddd.num_vgpr, 34
	.set _Z2mdPK15HIP_vector_typeIdLj4EEPS0_PKiiiddd.num_agpr, 0
	.set _Z2mdPK15HIP_vector_typeIdLj4EEPS0_PKiiiddd.numbered_sgpr, 18
	.set _Z2mdPK15HIP_vector_typeIdLj4EEPS0_PKiiiddd.num_named_barrier, 0
	.set _Z2mdPK15HIP_vector_typeIdLj4EEPS0_PKiiiddd.private_seg_size, 0
	.set _Z2mdPK15HIP_vector_typeIdLj4EEPS0_PKiiiddd.uses_vcc, 1
	.set _Z2mdPK15HIP_vector_typeIdLj4EEPS0_PKiiiddd.uses_flat_scratch, 0
	.set _Z2mdPK15HIP_vector_typeIdLj4EEPS0_PKiiiddd.has_dyn_sized_stack, 0
	.set _Z2mdPK15HIP_vector_typeIdLj4EEPS0_PKiiiddd.has_recursion, 0
	.set _Z2mdPK15HIP_vector_typeIdLj4EEPS0_PKiiiddd.has_indirect_call, 0
	.section	.AMDGPU.csdata,"",@progbits
; Kernel info:
; codeLenInByte = 572
; TotalNumSgprs: 22
; NumVgprs: 34
; ScratchSize: 0
; MemoryBound: 1
; FloatMode: 240
; IeeeMode: 1
; LDSByteSize: 0 bytes/workgroup (compile time only)
; SGPRBlocks: 2
; VGPRBlocks: 8
; NumSGPRsForWavesPerEU: 22
; NumVGPRsForWavesPerEU: 34
; Occupancy: 7
; WaveLimiterHint : 1
; COMPUTE_PGM_RSRC2:SCRATCH_EN: 0
; COMPUTE_PGM_RSRC2:USER_SGPR: 6
; COMPUTE_PGM_RSRC2:TRAP_HANDLER: 0
; COMPUTE_PGM_RSRC2:TGID_X_EN: 1
; COMPUTE_PGM_RSRC2:TGID_Y_EN: 0
; COMPUTE_PGM_RSRC2:TGID_Z_EN: 0
; COMPUTE_PGM_RSRC2:TIDIG_COMP_CNT: 0
	.section	.AMDGPU.gpr_maximums,"",@progbits
	.set amdgpu.max_num_vgpr, 0
	.set amdgpu.max_num_agpr, 0
	.set amdgpu.max_num_sgpr, 0
	.section	.AMDGPU.csdata,"",@progbits
	.type	__hip_cuid_62825c3f187736c,@object ; @__hip_cuid_62825c3f187736c
	.section	.bss,"aw",@nobits
	.globl	__hip_cuid_62825c3f187736c
__hip_cuid_62825c3f187736c:
	.byte	0                               ; 0x0
	.size	__hip_cuid_62825c3f187736c, 1

	.ident	"AMD clang version 22.0.0git (https://github.com/RadeonOpenCompute/llvm-project roc-7.2.4 26084 f58b06dce1f9c15707c5f808fd002e18c2accf7e)"
	.section	".note.GNU-stack","",@progbits
	.addrsig
	.addrsig_sym __hip_cuid_62825c3f187736c
	.amdgpu_metadata
---
amdhsa.kernels:
  - .args:
      - .actual_access:  read_only
        .address_space:  global
        .offset:         0
        .size:           8
        .value_kind:     global_buffer
      - .actual_access:  write_only
        .address_space:  global
        .offset:         8
        .size:           8
        .value_kind:     global_buffer
      - .actual_access:  read_only
        .address_space:  global
        .offset:         16
        .size:           8
        .value_kind:     global_buffer
      - .offset:         24
        .size:           4
        .value_kind:     by_value
      - .offset:         28
        .size:           4
        .value_kind:     by_value
      - .offset:         32
        .size:           8
        .value_kind:     by_value
      - .offset:         40
        .size:           8
        .value_kind:     by_value
      - .offset:         48
        .size:           8
        .value_kind:     by_value
      - .offset:         56
        .size:           4
        .value_kind:     hidden_block_count_x
      - .offset:         60
        .size:           4
        .value_kind:     hidden_block_count_y
      - .offset:         64
        .size:           4
        .value_kind:     hidden_block_count_z
      - .offset:         68
        .size:           2
        .value_kind:     hidden_group_size_x
      - .offset:         70
        .size:           2
        .value_kind:     hidden_group_size_y
      - .offset:         72
        .size:           2
        .value_kind:     hidden_group_size_z
      - .offset:         74
        .size:           2
        .value_kind:     hidden_remainder_x
      - .offset:         76
        .size:           2
        .value_kind:     hidden_remainder_y
      - .offset:         78
        .size:           2
        .value_kind:     hidden_remainder_z
      - .offset:         96
        .size:           8
        .value_kind:     hidden_global_offset_x
      - .offset:         104
        .size:           8
        .value_kind:     hidden_global_offset_y
      - .offset:         112
        .size:           8
        .value_kind:     hidden_global_offset_z
      - .offset:         120
        .size:           2
        .value_kind:     hidden_grid_dims
    .group_segment_fixed_size: 0
    .kernarg_segment_align: 8
    .kernarg_segment_size: 312
    .language:       OpenCL C
    .language_version:
      - 2
      - 0
    .max_flat_workgroup_size: 1024
    .name:           _Z2mdPK15HIP_vector_typeIdLj4EEPS0_PKiiiddd
    .private_segment_fixed_size: 0
    .sgpr_count:     22
    .sgpr_spill_count: 0
    .symbol:         _Z2mdPK15HIP_vector_typeIdLj4EEPS0_PKiiiddd.kd
    .uniform_work_group_size: 1
    .uses_dynamic_stack: false
    .vgpr_count:     34
    .vgpr_spill_count: 0
    .wavefront_size: 64
amdhsa.target:   amdgcn-amd-amdhsa--gfx906
amdhsa.version:
  - 1
  - 2
...

	.end_amdgpu_metadata
